;; amdgpu-corpus repo=ROCm/bitsandbytes kind=harvested arch=n/a opt=n/a
	.text
	.amdgcn_target "amdgcn-amd-amdhsa--gfx942"
	.amdhsa_code_object_version 6
	.protected	_Z19kPercentileClippingI6__halfLi2048ELi4EEvPT_Pfii ; -- Begin function _Z19kPercentileClippingI6__halfLi2048ELi4EEvPT_Pfii
	.globl	_Z19kPercentileClippingI6__halfLi2048ELi4EEvPT_Pfii
	.p2align	8
	.type	_Z19kPercentileClippingI6__halfLi2048ELi4EEvPT_Pfii,@function
_Z19kPercentileClippingI6__halfLi2048ELi4EEvPT_Pfii: ; @_Z19kPercentileClippingI6__halfLi2048ELi4EEvPT_Pfii
; %bb.0:
	s_load_dwordx2 s[12:13], s[0:1], 0x10
	s_mov_b32 s17, 0
	s_waitcnt lgkmcnt(0)
	s_ashr_i32 s3, s13, 31
	s_lshr_b32 s3, s3, 21
	s_add_i32 s3, s13, s3
	s_and_b32 s4, s13, 0x7ff
	s_and_b32 s3, s3, 0xfffff800
	s_cmp_lg_u32 s4, 0
	s_cselect_b64 s[4:5], -1, 0
	v_cndmask_b32_e64 v1, 0, 1, s[4:5]
	s_lshl_b32 s14, s2, 11
	v_readfirstlane_b32 s4, v1
	s_lshl_b32 s24, s4, 11
	s_add_i32 s24, s24, s3
	s_cmp_ge_u32 s14, s24
	s_cbranch_scc1 .LBB95_125
; %bb.1:
	v_mbcnt_lo_u32_b32 v1, -1, 0
	v_mbcnt_hi_u32_b32 v1, -1, v1
	v_and_b32_e32 v13, 0x3c0, v0
	v_add_u32_e32 v14, v1, v13
	v_lshlrev_b32_e32 v15, 2, v14
	v_lshrrev_b32_e32 v14, 3, v14
	v_and_b32_e32 v25, 63, v1
	v_and_b32_e32 v14, 0xfe, v14
	v_cmp_ne_u32_e32 vcc, 63, v25
	s_load_dwordx4 s[8:11], s[0:1], 0x0
	s_load_dword s15, s[0:1], 0x18
	v_add_lshl_u32 v14, v14, v15, 1
	v_addc_co_u32_e32 v15, vcc, 0, v1, vcc
	v_cmp_gt_u32_e32 vcc, 62, v25
	v_lshlrev_b32_e32 v2, 2, v0
	v_and_b32_e32 v6, 0xf00, v2
	v_cndmask_b32_e64 v17, 0, 1, vcc
	v_cmp_gt_u32_e32 vcc, 60, v25
	v_lshlrev_b32_e32 v2, 1, v1
	v_mov_b32_e32 v3, 0
	v_cndmask_b32_e64 v19, 0, 1, vcc
	v_cmp_gt_u32_e32 vcc, 56, v25
	s_cmp_lg_u32 s12, 1
	s_mul_hi_i32 s6, s12, 0x51eb851f
	v_cndmask_b32_e64 v21, 0, 1, vcc
	v_cmp_gt_u32_e32 vcc, 48, v25
	s_waitcnt lgkmcnt(0)
	v_lshl_add_u64 v[4:5], s[8:9], 0, v[2:3]
	v_and_b32_e32 v34, 7, v1
	v_cndmask_b32_e64 v23, 0, 1, vcc
	v_cmp_gt_u32_e32 vcc, 32, v25
	s_cselect_b64 s[8:9], -1, 0
	s_lshr_b32 s7, s6, 31
	s_ashr_i32 s6, s6, 5
	v_cndmask_b32_e64 v25, 0, 1, vcc
	v_cmp_ne_u32_e32 vcc, 7, v34
	s_add_i32 s6, s6, s7
	v_lshlrev_b32_e32 v2, 1, v6
	v_addc_co_u32_e32 v30, vcc, 0, v1, vcc
	s_mulk_i32 s6, 0x64
	v_lshl_add_u64 v[4:5], v[4:5], 0, v[2:3]
	v_or_b32_e32 v2, v1, v6
	v_cmp_gt_u32_e32 vcc, 6, v34
	s_sub_i32 s6, s12, s6
	v_add_u32_e32 v6, 64, v2
	v_or_b32_e32 v7, 0x80, v2
	v_add_u32_e32 v8, 0xc0, v2
	v_cndmask_b32_e64 v32, 0, 1, vcc
	v_cmp_gt_u32_e32 vcc, 4, v34
	s_ashr_i32 s7, s6, 31
	v_lshrrev_b32_e32 v9, 5, v2
	v_lshrrev_b32_e32 v10, 5, v6
	;; [unrolled: 1-line block ×4, first 2 shown]
	v_add_u32_e32 v29, 1, v34
	v_add_u32_e32 v31, 2, v34
	;; [unrolled: 1-line block ×3, first 2 shown]
	v_cndmask_b32_e64 v34, 0, 1, vcc
	s_lshl_b64 s[6:7], s[6:7], 2
	v_and_b32_e32 v9, 0x7a, v9
	v_and_b32_e32 v10, 0x7e, v10
	;; [unrolled: 1-line block ×4, first 2 shown]
	v_lshlrev_b32_e32 v17, 1, v17
	v_lshlrev_b32_e32 v19, 2, v19
	;; [unrolled: 1-line block ×5, first 2 shown]
	v_lshrrev_b32_e32 v27, 4, v0
	v_mov_b32_e32 v28, 0x1080
	v_lshlrev_b32_e32 v32, 1, v32
	v_lshlrev_b32_e32 v34, 2, v34
	s_add_u32 s18, s10, s6
	v_add_lshl_u32 v9, v9, v2, 1
	v_add_lshl_u32 v10, v10, v6, 1
	;; [unrolled: 1-line block ×4, first 2 shown]
	v_lshlrev_b32_e32 v15, 2, v15
	v_add_u32_e32 v16, 1, v1
	v_add_lshl_u32 v17, v17, v1, 2
	v_add_u32_e32 v18, 2, v1
	v_add_lshl_u32 v19, v19, v1, 2
	v_add_u32_e32 v20, 4, v1
	v_add_lshl_u32 v21, v21, v1, 2
	v_add_u32_e32 v22, 8, v1
	v_add_lshl_u32 v23, v23, v1, 2
	v_add_u32_e32 v24, 16, v1
	v_add_lshl_u32 v25, v25, v1, 2
	v_add_u32_e32 v26, 32, v1
	v_cmp_eq_u32_e64 s[0:1], 0, v1
	v_and_or_b32 v27, v27, 60, v28
	v_cmp_gt_u32_e64 s[2:3], 8, v0
	v_lshl_add_u32 v28, v1, 2, v28
	v_lshlrev_b32_e32 v30, 2, v30
	v_add_lshl_u32 v32, v32, v1, 2
	v_add_lshl_u32 v34, v34, v1, 2
	v_cmp_eq_u32_e64 s[4:5], 0, v0
	s_addc_u32 s19, s11, s7
	s_lshl_b32 s12, s15, 11
	s_branch .LBB95_3
.LBB95_2:                               ;   in Loop: Header=BB95_3 Depth=1
	s_or_b64 exec, exec, s[6:7]
	s_add_i32 s14, s12, s14
	s_cmp_ge_u32 s14, s24
	s_cbranch_scc1 .LBB95_125
.LBB95_3:                               ; =>This Loop Header: Depth=1
                                        ;     Child Loop BB95_18 Depth 2
                                        ;     Child Loop BB95_25 Depth 2
                                        ;       Child Loop BB95_26 Depth 3
                                        ;       Child Loop BB95_30 Depth 3
	;; [unrolled: 1-line block ×25, first 2 shown]
	s_sub_i32 s6, s13, s14
	s_min_u32 s16, s6, 0x800
	s_mov_b32 s15, s17
	v_lshl_add_u64 v[0:1], s[14:15], 1, v[4:5]
	v_cmp_gt_u32_e32 vcc, s16, v2
	v_mov_b32_e32 v35, 0
	s_barrier
	s_and_saveexec_b64 s[6:7], vcc
	s_cbranch_execz .LBB95_5
; %bb.4:                                ;   in Loop: Header=BB95_3 Depth=1
	global_load_ushort v35, v[0:1], off
.LBB95_5:                               ;   in Loop: Header=BB95_3 Depth=1
	s_or_b64 exec, exec, s[6:7]
	v_cmp_gt_u32_e32 vcc, s16, v6
	v_mov_b32_e32 v36, 0
	v_mov_b32_e32 v37, 0
	s_and_saveexec_b64 s[6:7], vcc
	s_cbranch_execz .LBB95_7
; %bb.6:                                ;   in Loop: Header=BB95_3 Depth=1
	global_load_ushort v37, v[0:1], off offset:128
.LBB95_7:                               ;   in Loop: Header=BB95_3 Depth=1
	s_or_b64 exec, exec, s[6:7]
	v_cmp_gt_u32_e32 vcc, s16, v7
	s_and_saveexec_b64 s[6:7], vcc
	s_cbranch_execz .LBB95_9
; %bb.8:                                ;   in Loop: Header=BB95_3 Depth=1
	global_load_ushort v36, v[0:1], off offset:256
.LBB95_9:                               ;   in Loop: Header=BB95_3 Depth=1
	s_or_b64 exec, exec, s[6:7]
	v_cmp_gt_u32_e32 vcc, s16, v8
	v_mov_b32_e32 v38, 0
	s_and_saveexec_b64 s[6:7], vcc
	s_cbranch_execz .LBB95_11
; %bb.10:                               ;   in Loop: Header=BB95_3 Depth=1
	global_load_ushort v38, v[0:1], off offset:384
.LBB95_11:                              ;   in Loop: Header=BB95_3 Depth=1
	s_or_b64 exec, exec, s[6:7]
	s_waitcnt vmcnt(0)
	ds_write_b16 v9, v35
	ds_write_b16 v10, v37
	;; [unrolled: 1-line block ×4, first 2 shown]
	; wave barrier
	ds_read_b64 v[0:1], v14
	s_waitcnt lgkmcnt(0)
	v_cvt_f32_f16_sdwa v35, v0 dst_sel:DWORD dst_unused:UNUSED_PAD src0_sel:WORD_1
	v_mul_f32_e32 v35, v35, v35
	v_fma_mix_f32 v0, v0, v0, v35 op_sel_hi:[1,1,0]
	v_sub_u32_e64 v35, s16, v13 clamp
	v_fma_mix_f32 v0, v1, v1, v0 op_sel_hi:[1,1,0]
	v_cmp_lt_u32_e32 vcc, v16, v35
	v_fma_mix_f32 v0, v1, v1, v0 op_sel:[1,1,0] op_sel_hi:[1,1,0]
	ds_bpermute_b32 v1, v15, v0
	s_waitcnt lgkmcnt(0)
	v_add_f32_e32 v1, v0, v1
	v_cndmask_b32_e32 v0, v0, v1, vcc
	ds_bpermute_b32 v1, v17, v0
	v_cmp_lt_u32_e32 vcc, v18, v35
	s_waitcnt lgkmcnt(0)
	v_add_f32_e32 v1, v0, v1
	v_cndmask_b32_e32 v0, v0, v1, vcc
	ds_bpermute_b32 v1, v19, v0
	v_cmp_lt_u32_e32 vcc, v20, v35
	;; [unrolled: 5-line block ×5, first 2 shown]
	s_waitcnt lgkmcnt(0)
	v_add_f32_e32 v1, v0, v1
	v_cndmask_b32_e32 v0, v0, v1, vcc
	s_and_saveexec_b64 s[6:7], s[0:1]
	s_cbranch_execz .LBB95_13
; %bb.12:                               ;   in Loop: Header=BB95_3 Depth=1
	ds_write_b32 v27, v0
.LBB95_13:                              ;   in Loop: Header=BB95_3 Depth=1
	s_or_b64 exec, exec, s[6:7]
	s_waitcnt lgkmcnt(0)
	s_barrier
	s_and_saveexec_b64 s[20:21], s[2:3]
	s_cbranch_execz .LBB95_15
; %bb.14:                               ;   in Loop: Header=BB95_3 Depth=1
	ds_read_b32 v0, v28
	s_add_i32 s16, s16, 63
	s_lshr_b32 s15, s16, 6
	v_cmp_gt_u32_e32 vcc, s15, v29
	v_cmp_gt_u32_e64 s[6:7], s15, v31
	s_waitcnt lgkmcnt(0)
	ds_bpermute_b32 v1, v30, v0
	s_waitcnt lgkmcnt(0)
	v_add_f32_e32 v1, v0, v1
	v_cndmask_b32_e32 v1, v0, v1, vcc
	ds_bpermute_b32 v35, v32, v1
	s_waitcnt lgkmcnt(0)
	v_add_f32_e32 v35, v1, v35
	v_cndmask_b32_e64 v1, v1, v35, s[6:7]
	ds_bpermute_b32 v35, v34, v1
	v_cmp_gt_u32_e64 s[6:7], s15, v33
	s_waitcnt lgkmcnt(0)
	v_add_f32_e32 v35, v1, v35
	v_cndmask_b32_e64 v1, v1, v35, s[6:7]
	v_cndmask_b32_e32 v0, v0, v1, vcc
.LBB95_15:                              ;   in Loop: Header=BB95_3 Depth=1
	s_or_b64 exec, exec, s[20:21]
	s_and_saveexec_b64 s[6:7], s[4:5]
	s_cbranch_execz .LBB95_2
; %bb.16:                               ;   in Loop: Header=BB95_3 Depth=1
	s_mov_b64 s[20:21], -1
	s_and_b64 vcc, exec, s[8:9]
	s_cbranch_vccz .LBB95_22
; %bb.17:                               ;   in Loop: Header=BB95_3 Depth=1
	s_mov_b64 s[20:21], exec
	v_bfrev_b32_e32 v1, 1
.LBB95_18:                              ;   Parent Loop BB95_3 Depth=1
                                        ; =>  This Inner Loop Header: Depth=2
	s_ff1_i32_b64 s15, s[20:21]
	s_lshl_b64 s[22:23], 1, s15
	v_readlane_b32 s16, v0, s15
	s_andn2_b64 s[20:21], s[20:21], s[22:23]
	s_cmp_lg_u64 s[20:21], 0
	v_add_f32_e32 v1, s16, v1
	s_cbranch_scc1 .LBB95_18
; %bb.19:                               ;   in Loop: Header=BB95_3 Depth=1
	v_mbcnt_lo_u32_b32 v35, exec_lo, 0
	v_mbcnt_hi_u32_b32 v35, exec_hi, v35
	v_cmp_eq_u32_e32 vcc, 0, v35
	s_and_saveexec_b64 s[20:21], vcc
	s_xor_b64 s[20:21], exec, s[20:21]
	s_cbranch_execz .LBB95_21
; %bb.20:                               ;   in Loop: Header=BB95_3 Depth=1
	global_atomic_add_f32 v3, v1, s[18:19]
.LBB95_21:                              ;   in Loop: Header=BB95_3 Depth=1
	s_or_b64 exec, exec, s[20:21]
	s_mov_b64 s[20:21], 0
.LBB95_22:                              ;   in Loop: Header=BB95_3 Depth=1
	s_and_b64 vcc, exec, s[20:21]
	s_cbranch_vccz .LBB95_2
; %bb.23:                               ;   in Loop: Header=BB95_3 Depth=1
	s_mov_b32 s16, 0
	s_branch .LBB95_25
.LBB95_24:                              ;   in Loop: Header=BB95_25 Depth=2
	s_or_b64 exec, exec, s[22:23]
	s_add_i32 s16, s16, 25
	s_cmpk_eq_i32 s16, 0x64
	s_cbranch_scc1 .LBB95_2
.LBB95_25:                              ;   Parent Loop BB95_3 Depth=1
                                        ; =>  This Loop Header: Depth=2
                                        ;       Child Loop BB95_26 Depth 3
                                        ;       Child Loop BB95_30 Depth 3
	;; [unrolled: 1-line block ×25, first 2 shown]
	s_mov_b64 s[20:21], exec
	v_bfrev_b32_e32 v1, 1
.LBB95_26:                              ;   Parent Loop BB95_3 Depth=1
                                        ;     Parent Loop BB95_25 Depth=2
                                        ; =>    This Inner Loop Header: Depth=3
	s_ff1_i32_b64 s15, s[20:21]
	s_lshl_b64 s[22:23], 1, s15
	v_readlane_b32 s25, v0, s15
	s_andn2_b64 s[20:21], s[20:21], s[22:23]
	s_cmp_lg_u64 s[20:21], 0
	v_add_f32_e32 v1, s25, v1
	s_cbranch_scc1 .LBB95_26
; %bb.27:                               ;   in Loop: Header=BB95_25 Depth=2
	s_lshl_b64 s[20:21], s[16:17], 2
	v_mbcnt_lo_u32_b32 v35, exec_lo, 0
	s_add_u32 s20, s10, s20
	v_mbcnt_hi_u32_b32 v35, exec_hi, v35
	s_addc_u32 s21, s11, s21
	v_cmp_eq_u32_e32 vcc, 0, v35
	s_and_saveexec_b64 s[22:23], vcc
	s_xor_b64 s[22:23], exec, s[22:23]
	s_cbranch_execz .LBB95_29
; %bb.28:                               ;   in Loop: Header=BB95_25 Depth=2
	global_atomic_add_f32 v3, v1, s[20:21]
.LBB95_29:                              ;   in Loop: Header=BB95_25 Depth=2
	s_or_b64 exec, exec, s[22:23]
	s_mov_b64 s[22:23], exec
	v_bfrev_b32_e32 v1, 1
.LBB95_30:                              ;   Parent Loop BB95_3 Depth=1
                                        ;     Parent Loop BB95_25 Depth=2
                                        ; =>    This Inner Loop Header: Depth=3
	s_ff1_i32_b64 s15, s[22:23]
	s_lshl_b64 s[26:27], 1, s15
	v_readlane_b32 s25, v0, s15
	s_andn2_b64 s[22:23], s[22:23], s[26:27]
	s_cmp_lg_u64 s[22:23], 0
	v_add_f32_e32 v1, s25, v1
	s_cbranch_scc1 .LBB95_30
; %bb.31:                               ;   in Loop: Header=BB95_25 Depth=2
	v_mbcnt_lo_u32_b32 v35, exec_lo, 0
	v_mbcnt_hi_u32_b32 v35, exec_hi, v35
	v_cmp_eq_u32_e32 vcc, 0, v35
	s_and_saveexec_b64 s[22:23], vcc
	s_xor_b64 s[22:23], exec, s[22:23]
	s_cbranch_execz .LBB95_33
; %bb.32:                               ;   in Loop: Header=BB95_25 Depth=2
	global_atomic_add_f32 v3, v1, s[20:21] offset:4
.LBB95_33:                              ;   in Loop: Header=BB95_25 Depth=2
	s_or_b64 exec, exec, s[22:23]
	s_mov_b64 s[22:23], exec
	v_bfrev_b32_e32 v1, 1
.LBB95_34:                              ;   Parent Loop BB95_3 Depth=1
                                        ;     Parent Loop BB95_25 Depth=2
                                        ; =>    This Inner Loop Header: Depth=3
	s_ff1_i32_b64 s15, s[22:23]
	s_lshl_b64 s[26:27], 1, s15
	v_readlane_b32 s25, v0, s15
	s_andn2_b64 s[22:23], s[22:23], s[26:27]
	s_cmp_lg_u64 s[22:23], 0
	v_add_f32_e32 v1, s25, v1
	s_cbranch_scc1 .LBB95_34
; %bb.35:                               ;   in Loop: Header=BB95_25 Depth=2
	v_mbcnt_lo_u32_b32 v35, exec_lo, 0
	v_mbcnt_hi_u32_b32 v35, exec_hi, v35
	v_cmp_eq_u32_e32 vcc, 0, v35
	s_and_saveexec_b64 s[22:23], vcc
	s_xor_b64 s[22:23], exec, s[22:23]
	s_cbranch_execz .LBB95_37
; %bb.36:                               ;   in Loop: Header=BB95_25 Depth=2
	global_atomic_add_f32 v3, v1, s[20:21] offset:8
.LBB95_37:                              ;   in Loop: Header=BB95_25 Depth=2
	s_or_b64 exec, exec, s[22:23]
	s_mov_b64 s[22:23], exec
	v_bfrev_b32_e32 v1, 1
.LBB95_38:                              ;   Parent Loop BB95_3 Depth=1
                                        ;     Parent Loop BB95_25 Depth=2
                                        ; =>    This Inner Loop Header: Depth=3
	s_ff1_i32_b64 s15, s[22:23]
	s_lshl_b64 s[26:27], 1, s15
	v_readlane_b32 s25, v0, s15
	s_andn2_b64 s[22:23], s[22:23], s[26:27]
	s_cmp_lg_u64 s[22:23], 0
	v_add_f32_e32 v1, s25, v1
	s_cbranch_scc1 .LBB95_38
; %bb.39:                               ;   in Loop: Header=BB95_25 Depth=2
	v_mbcnt_lo_u32_b32 v35, exec_lo, 0
	v_mbcnt_hi_u32_b32 v35, exec_hi, v35
	v_cmp_eq_u32_e32 vcc, 0, v35
	s_and_saveexec_b64 s[22:23], vcc
	s_xor_b64 s[22:23], exec, s[22:23]
	s_cbranch_execz .LBB95_41
; %bb.40:                               ;   in Loop: Header=BB95_25 Depth=2
	global_atomic_add_f32 v3, v1, s[20:21] offset:12
.LBB95_41:                              ;   in Loop: Header=BB95_25 Depth=2
	s_or_b64 exec, exec, s[22:23]
	s_mov_b64 s[22:23], exec
	v_bfrev_b32_e32 v1, 1
.LBB95_42:                              ;   Parent Loop BB95_3 Depth=1
                                        ;     Parent Loop BB95_25 Depth=2
                                        ; =>    This Inner Loop Header: Depth=3
	s_ff1_i32_b64 s15, s[22:23]
	s_lshl_b64 s[26:27], 1, s15
	v_readlane_b32 s25, v0, s15
	s_andn2_b64 s[22:23], s[22:23], s[26:27]
	s_cmp_lg_u64 s[22:23], 0
	v_add_f32_e32 v1, s25, v1
	s_cbranch_scc1 .LBB95_42
; %bb.43:                               ;   in Loop: Header=BB95_25 Depth=2
	v_mbcnt_lo_u32_b32 v35, exec_lo, 0
	v_mbcnt_hi_u32_b32 v35, exec_hi, v35
	v_cmp_eq_u32_e32 vcc, 0, v35
	s_and_saveexec_b64 s[22:23], vcc
	s_xor_b64 s[22:23], exec, s[22:23]
	s_cbranch_execz .LBB95_45
; %bb.44:                               ;   in Loop: Header=BB95_25 Depth=2
	global_atomic_add_f32 v3, v1, s[20:21] offset:16
.LBB95_45:                              ;   in Loop: Header=BB95_25 Depth=2
	s_or_b64 exec, exec, s[22:23]
	s_mov_b64 s[22:23], exec
	v_bfrev_b32_e32 v1, 1
.LBB95_46:                              ;   Parent Loop BB95_3 Depth=1
                                        ;     Parent Loop BB95_25 Depth=2
                                        ; =>    This Inner Loop Header: Depth=3
	s_ff1_i32_b64 s15, s[22:23]
	s_lshl_b64 s[26:27], 1, s15
	v_readlane_b32 s25, v0, s15
	s_andn2_b64 s[22:23], s[22:23], s[26:27]
	s_cmp_lg_u64 s[22:23], 0
	v_add_f32_e32 v1, s25, v1
	s_cbranch_scc1 .LBB95_46
; %bb.47:                               ;   in Loop: Header=BB95_25 Depth=2
	v_mbcnt_lo_u32_b32 v35, exec_lo, 0
	v_mbcnt_hi_u32_b32 v35, exec_hi, v35
	v_cmp_eq_u32_e32 vcc, 0, v35
	s_and_saveexec_b64 s[22:23], vcc
	s_xor_b64 s[22:23], exec, s[22:23]
	s_cbranch_execz .LBB95_49
; %bb.48:                               ;   in Loop: Header=BB95_25 Depth=2
	global_atomic_add_f32 v3, v1, s[20:21] offset:20
.LBB95_49:                              ;   in Loop: Header=BB95_25 Depth=2
	s_or_b64 exec, exec, s[22:23]
	s_mov_b64 s[22:23], exec
	v_bfrev_b32_e32 v1, 1
.LBB95_50:                              ;   Parent Loop BB95_3 Depth=1
                                        ;     Parent Loop BB95_25 Depth=2
                                        ; =>    This Inner Loop Header: Depth=3
	s_ff1_i32_b64 s15, s[22:23]
	s_lshl_b64 s[26:27], 1, s15
	v_readlane_b32 s25, v0, s15
	s_andn2_b64 s[22:23], s[22:23], s[26:27]
	s_cmp_lg_u64 s[22:23], 0
	v_add_f32_e32 v1, s25, v1
	s_cbranch_scc1 .LBB95_50
; %bb.51:                               ;   in Loop: Header=BB95_25 Depth=2
	v_mbcnt_lo_u32_b32 v35, exec_lo, 0
	v_mbcnt_hi_u32_b32 v35, exec_hi, v35
	v_cmp_eq_u32_e32 vcc, 0, v35
	s_and_saveexec_b64 s[22:23], vcc
	s_xor_b64 s[22:23], exec, s[22:23]
	s_cbranch_execz .LBB95_53
; %bb.52:                               ;   in Loop: Header=BB95_25 Depth=2
	global_atomic_add_f32 v3, v1, s[20:21] offset:24
.LBB95_53:                              ;   in Loop: Header=BB95_25 Depth=2
	s_or_b64 exec, exec, s[22:23]
	s_mov_b64 s[22:23], exec
	v_bfrev_b32_e32 v1, 1
.LBB95_54:                              ;   Parent Loop BB95_3 Depth=1
                                        ;     Parent Loop BB95_25 Depth=2
                                        ; =>    This Inner Loop Header: Depth=3
	s_ff1_i32_b64 s15, s[22:23]
	s_lshl_b64 s[26:27], 1, s15
	v_readlane_b32 s25, v0, s15
	s_andn2_b64 s[22:23], s[22:23], s[26:27]
	s_cmp_lg_u64 s[22:23], 0
	v_add_f32_e32 v1, s25, v1
	s_cbranch_scc1 .LBB95_54
; %bb.55:                               ;   in Loop: Header=BB95_25 Depth=2
	v_mbcnt_lo_u32_b32 v35, exec_lo, 0
	v_mbcnt_hi_u32_b32 v35, exec_hi, v35
	v_cmp_eq_u32_e32 vcc, 0, v35
	s_and_saveexec_b64 s[22:23], vcc
	s_xor_b64 s[22:23], exec, s[22:23]
	s_cbranch_execz .LBB95_57
; %bb.56:                               ;   in Loop: Header=BB95_25 Depth=2
	global_atomic_add_f32 v3, v1, s[20:21] offset:28
.LBB95_57:                              ;   in Loop: Header=BB95_25 Depth=2
	s_or_b64 exec, exec, s[22:23]
	s_mov_b64 s[22:23], exec
	v_bfrev_b32_e32 v1, 1
.LBB95_58:                              ;   Parent Loop BB95_3 Depth=1
                                        ;     Parent Loop BB95_25 Depth=2
                                        ; =>    This Inner Loop Header: Depth=3
	s_ff1_i32_b64 s15, s[22:23]
	s_lshl_b64 s[26:27], 1, s15
	v_readlane_b32 s25, v0, s15
	s_andn2_b64 s[22:23], s[22:23], s[26:27]
	s_cmp_lg_u64 s[22:23], 0
	v_add_f32_e32 v1, s25, v1
	s_cbranch_scc1 .LBB95_58
; %bb.59:                               ;   in Loop: Header=BB95_25 Depth=2
	v_mbcnt_lo_u32_b32 v35, exec_lo, 0
	v_mbcnt_hi_u32_b32 v35, exec_hi, v35
	v_cmp_eq_u32_e32 vcc, 0, v35
	s_and_saveexec_b64 s[22:23], vcc
	s_xor_b64 s[22:23], exec, s[22:23]
	s_cbranch_execz .LBB95_61
; %bb.60:                               ;   in Loop: Header=BB95_25 Depth=2
	global_atomic_add_f32 v3, v1, s[20:21] offset:32
.LBB95_61:                              ;   in Loop: Header=BB95_25 Depth=2
	s_or_b64 exec, exec, s[22:23]
	s_mov_b64 s[22:23], exec
	v_bfrev_b32_e32 v1, 1
.LBB95_62:                              ;   Parent Loop BB95_3 Depth=1
                                        ;     Parent Loop BB95_25 Depth=2
                                        ; =>    This Inner Loop Header: Depth=3
	s_ff1_i32_b64 s15, s[22:23]
	s_lshl_b64 s[26:27], 1, s15
	v_readlane_b32 s25, v0, s15
	s_andn2_b64 s[22:23], s[22:23], s[26:27]
	s_cmp_lg_u64 s[22:23], 0
	v_add_f32_e32 v1, s25, v1
	s_cbranch_scc1 .LBB95_62
; %bb.63:                               ;   in Loop: Header=BB95_25 Depth=2
	v_mbcnt_lo_u32_b32 v35, exec_lo, 0
	v_mbcnt_hi_u32_b32 v35, exec_hi, v35
	v_cmp_eq_u32_e32 vcc, 0, v35
	s_and_saveexec_b64 s[22:23], vcc
	s_xor_b64 s[22:23], exec, s[22:23]
	s_cbranch_execz .LBB95_65
; %bb.64:                               ;   in Loop: Header=BB95_25 Depth=2
	global_atomic_add_f32 v3, v1, s[20:21] offset:36
.LBB95_65:                              ;   in Loop: Header=BB95_25 Depth=2
	s_or_b64 exec, exec, s[22:23]
	s_mov_b64 s[22:23], exec
	v_bfrev_b32_e32 v1, 1
.LBB95_66:                              ;   Parent Loop BB95_3 Depth=1
                                        ;     Parent Loop BB95_25 Depth=2
                                        ; =>    This Inner Loop Header: Depth=3
	s_ff1_i32_b64 s15, s[22:23]
	s_lshl_b64 s[26:27], 1, s15
	v_readlane_b32 s25, v0, s15
	s_andn2_b64 s[22:23], s[22:23], s[26:27]
	s_cmp_lg_u64 s[22:23], 0
	v_add_f32_e32 v1, s25, v1
	s_cbranch_scc1 .LBB95_66
; %bb.67:                               ;   in Loop: Header=BB95_25 Depth=2
	v_mbcnt_lo_u32_b32 v35, exec_lo, 0
	v_mbcnt_hi_u32_b32 v35, exec_hi, v35
	v_cmp_eq_u32_e32 vcc, 0, v35
	s_and_saveexec_b64 s[22:23], vcc
	s_xor_b64 s[22:23], exec, s[22:23]
	s_cbranch_execz .LBB95_69
; %bb.68:                               ;   in Loop: Header=BB95_25 Depth=2
	global_atomic_add_f32 v3, v1, s[20:21] offset:40
.LBB95_69:                              ;   in Loop: Header=BB95_25 Depth=2
	s_or_b64 exec, exec, s[22:23]
	s_mov_b64 s[22:23], exec
	v_bfrev_b32_e32 v1, 1
.LBB95_70:                              ;   Parent Loop BB95_3 Depth=1
                                        ;     Parent Loop BB95_25 Depth=2
                                        ; =>    This Inner Loop Header: Depth=3
	s_ff1_i32_b64 s15, s[22:23]
	s_lshl_b64 s[26:27], 1, s15
	v_readlane_b32 s25, v0, s15
	s_andn2_b64 s[22:23], s[22:23], s[26:27]
	s_cmp_lg_u64 s[22:23], 0
	v_add_f32_e32 v1, s25, v1
	s_cbranch_scc1 .LBB95_70
; %bb.71:                               ;   in Loop: Header=BB95_25 Depth=2
	v_mbcnt_lo_u32_b32 v35, exec_lo, 0
	v_mbcnt_hi_u32_b32 v35, exec_hi, v35
	v_cmp_eq_u32_e32 vcc, 0, v35
	s_and_saveexec_b64 s[22:23], vcc
	s_xor_b64 s[22:23], exec, s[22:23]
	s_cbranch_execz .LBB95_73
; %bb.72:                               ;   in Loop: Header=BB95_25 Depth=2
	global_atomic_add_f32 v3, v1, s[20:21] offset:44
.LBB95_73:                              ;   in Loop: Header=BB95_25 Depth=2
	s_or_b64 exec, exec, s[22:23]
	s_mov_b64 s[22:23], exec
	v_bfrev_b32_e32 v1, 1
.LBB95_74:                              ;   Parent Loop BB95_3 Depth=1
                                        ;     Parent Loop BB95_25 Depth=2
                                        ; =>    This Inner Loop Header: Depth=3
	s_ff1_i32_b64 s15, s[22:23]
	s_lshl_b64 s[26:27], 1, s15
	v_readlane_b32 s25, v0, s15
	s_andn2_b64 s[22:23], s[22:23], s[26:27]
	s_cmp_lg_u64 s[22:23], 0
	v_add_f32_e32 v1, s25, v1
	s_cbranch_scc1 .LBB95_74
; %bb.75:                               ;   in Loop: Header=BB95_25 Depth=2
	v_mbcnt_lo_u32_b32 v35, exec_lo, 0
	v_mbcnt_hi_u32_b32 v35, exec_hi, v35
	v_cmp_eq_u32_e32 vcc, 0, v35
	s_and_saveexec_b64 s[22:23], vcc
	s_xor_b64 s[22:23], exec, s[22:23]
	s_cbranch_execz .LBB95_77
; %bb.76:                               ;   in Loop: Header=BB95_25 Depth=2
	global_atomic_add_f32 v3, v1, s[20:21] offset:48
.LBB95_77:                              ;   in Loop: Header=BB95_25 Depth=2
	s_or_b64 exec, exec, s[22:23]
	s_mov_b64 s[22:23], exec
	v_bfrev_b32_e32 v1, 1
.LBB95_78:                              ;   Parent Loop BB95_3 Depth=1
                                        ;     Parent Loop BB95_25 Depth=2
                                        ; =>    This Inner Loop Header: Depth=3
	s_ff1_i32_b64 s15, s[22:23]
	s_lshl_b64 s[26:27], 1, s15
	v_readlane_b32 s25, v0, s15
	s_andn2_b64 s[22:23], s[22:23], s[26:27]
	s_cmp_lg_u64 s[22:23], 0
	v_add_f32_e32 v1, s25, v1
	s_cbranch_scc1 .LBB95_78
; %bb.79:                               ;   in Loop: Header=BB95_25 Depth=2
	v_mbcnt_lo_u32_b32 v35, exec_lo, 0
	v_mbcnt_hi_u32_b32 v35, exec_hi, v35
	v_cmp_eq_u32_e32 vcc, 0, v35
	s_and_saveexec_b64 s[22:23], vcc
	s_xor_b64 s[22:23], exec, s[22:23]
	s_cbranch_execz .LBB95_81
; %bb.80:                               ;   in Loop: Header=BB95_25 Depth=2
	global_atomic_add_f32 v3, v1, s[20:21] offset:52
.LBB95_81:                              ;   in Loop: Header=BB95_25 Depth=2
	s_or_b64 exec, exec, s[22:23]
	s_mov_b64 s[22:23], exec
	v_bfrev_b32_e32 v1, 1
.LBB95_82:                              ;   Parent Loop BB95_3 Depth=1
                                        ;     Parent Loop BB95_25 Depth=2
                                        ; =>    This Inner Loop Header: Depth=3
	s_ff1_i32_b64 s15, s[22:23]
	s_lshl_b64 s[26:27], 1, s15
	v_readlane_b32 s25, v0, s15
	s_andn2_b64 s[22:23], s[22:23], s[26:27]
	s_cmp_lg_u64 s[22:23], 0
	v_add_f32_e32 v1, s25, v1
	s_cbranch_scc1 .LBB95_82
; %bb.83:                               ;   in Loop: Header=BB95_25 Depth=2
	v_mbcnt_lo_u32_b32 v35, exec_lo, 0
	v_mbcnt_hi_u32_b32 v35, exec_hi, v35
	v_cmp_eq_u32_e32 vcc, 0, v35
	s_and_saveexec_b64 s[22:23], vcc
	s_xor_b64 s[22:23], exec, s[22:23]
	s_cbranch_execz .LBB95_85
; %bb.84:                               ;   in Loop: Header=BB95_25 Depth=2
	global_atomic_add_f32 v3, v1, s[20:21] offset:56
.LBB95_85:                              ;   in Loop: Header=BB95_25 Depth=2
	s_or_b64 exec, exec, s[22:23]
	s_mov_b64 s[22:23], exec
	v_bfrev_b32_e32 v1, 1
.LBB95_86:                              ;   Parent Loop BB95_3 Depth=1
                                        ;     Parent Loop BB95_25 Depth=2
                                        ; =>    This Inner Loop Header: Depth=3
	s_ff1_i32_b64 s15, s[22:23]
	s_lshl_b64 s[26:27], 1, s15
	v_readlane_b32 s25, v0, s15
	s_andn2_b64 s[22:23], s[22:23], s[26:27]
	s_cmp_lg_u64 s[22:23], 0
	v_add_f32_e32 v1, s25, v1
	s_cbranch_scc1 .LBB95_86
; %bb.87:                               ;   in Loop: Header=BB95_25 Depth=2
	v_mbcnt_lo_u32_b32 v35, exec_lo, 0
	v_mbcnt_hi_u32_b32 v35, exec_hi, v35
	v_cmp_eq_u32_e32 vcc, 0, v35
	s_and_saveexec_b64 s[22:23], vcc
	s_xor_b64 s[22:23], exec, s[22:23]
	s_cbranch_execz .LBB95_89
; %bb.88:                               ;   in Loop: Header=BB95_25 Depth=2
	global_atomic_add_f32 v3, v1, s[20:21] offset:60
.LBB95_89:                              ;   in Loop: Header=BB95_25 Depth=2
	s_or_b64 exec, exec, s[22:23]
	s_mov_b64 s[22:23], exec
	v_bfrev_b32_e32 v1, 1
.LBB95_90:                              ;   Parent Loop BB95_3 Depth=1
                                        ;     Parent Loop BB95_25 Depth=2
                                        ; =>    This Inner Loop Header: Depth=3
	s_ff1_i32_b64 s15, s[22:23]
	s_lshl_b64 s[26:27], 1, s15
	v_readlane_b32 s25, v0, s15
	s_andn2_b64 s[22:23], s[22:23], s[26:27]
	s_cmp_lg_u64 s[22:23], 0
	v_add_f32_e32 v1, s25, v1
	s_cbranch_scc1 .LBB95_90
; %bb.91:                               ;   in Loop: Header=BB95_25 Depth=2
	v_mbcnt_lo_u32_b32 v35, exec_lo, 0
	v_mbcnt_hi_u32_b32 v35, exec_hi, v35
	v_cmp_eq_u32_e32 vcc, 0, v35
	s_and_saveexec_b64 s[22:23], vcc
	s_xor_b64 s[22:23], exec, s[22:23]
	s_cbranch_execz .LBB95_93
; %bb.92:                               ;   in Loop: Header=BB95_25 Depth=2
	global_atomic_add_f32 v3, v1, s[20:21] offset:64
.LBB95_93:                              ;   in Loop: Header=BB95_25 Depth=2
	s_or_b64 exec, exec, s[22:23]
	s_mov_b64 s[22:23], exec
	v_bfrev_b32_e32 v1, 1
.LBB95_94:                              ;   Parent Loop BB95_3 Depth=1
                                        ;     Parent Loop BB95_25 Depth=2
                                        ; =>    This Inner Loop Header: Depth=3
	s_ff1_i32_b64 s15, s[22:23]
	s_lshl_b64 s[26:27], 1, s15
	v_readlane_b32 s25, v0, s15
	s_andn2_b64 s[22:23], s[22:23], s[26:27]
	s_cmp_lg_u64 s[22:23], 0
	v_add_f32_e32 v1, s25, v1
	s_cbranch_scc1 .LBB95_94
; %bb.95:                               ;   in Loop: Header=BB95_25 Depth=2
	v_mbcnt_lo_u32_b32 v35, exec_lo, 0
	v_mbcnt_hi_u32_b32 v35, exec_hi, v35
	v_cmp_eq_u32_e32 vcc, 0, v35
	s_and_saveexec_b64 s[22:23], vcc
	s_xor_b64 s[22:23], exec, s[22:23]
	s_cbranch_execz .LBB95_97
; %bb.96:                               ;   in Loop: Header=BB95_25 Depth=2
	global_atomic_add_f32 v3, v1, s[20:21] offset:68
.LBB95_97:                              ;   in Loop: Header=BB95_25 Depth=2
	s_or_b64 exec, exec, s[22:23]
	s_mov_b64 s[22:23], exec
	v_bfrev_b32_e32 v1, 1
.LBB95_98:                              ;   Parent Loop BB95_3 Depth=1
                                        ;     Parent Loop BB95_25 Depth=2
                                        ; =>    This Inner Loop Header: Depth=3
	s_ff1_i32_b64 s15, s[22:23]
	s_lshl_b64 s[26:27], 1, s15
	v_readlane_b32 s25, v0, s15
	s_andn2_b64 s[22:23], s[22:23], s[26:27]
	s_cmp_lg_u64 s[22:23], 0
	v_add_f32_e32 v1, s25, v1
	s_cbranch_scc1 .LBB95_98
; %bb.99:                               ;   in Loop: Header=BB95_25 Depth=2
	v_mbcnt_lo_u32_b32 v35, exec_lo, 0
	v_mbcnt_hi_u32_b32 v35, exec_hi, v35
	v_cmp_eq_u32_e32 vcc, 0, v35
	s_and_saveexec_b64 s[22:23], vcc
	s_xor_b64 s[22:23], exec, s[22:23]
	s_cbranch_execz .LBB95_101
; %bb.100:                              ;   in Loop: Header=BB95_25 Depth=2
	global_atomic_add_f32 v3, v1, s[20:21] offset:72
.LBB95_101:                             ;   in Loop: Header=BB95_25 Depth=2
	s_or_b64 exec, exec, s[22:23]
	s_mov_b64 s[22:23], exec
	v_bfrev_b32_e32 v1, 1
.LBB95_102:                             ;   Parent Loop BB95_3 Depth=1
                                        ;     Parent Loop BB95_25 Depth=2
                                        ; =>    This Inner Loop Header: Depth=3
	s_ff1_i32_b64 s15, s[22:23]
	s_lshl_b64 s[26:27], 1, s15
	v_readlane_b32 s25, v0, s15
	s_andn2_b64 s[22:23], s[22:23], s[26:27]
	s_cmp_lg_u64 s[22:23], 0
	v_add_f32_e32 v1, s25, v1
	s_cbranch_scc1 .LBB95_102
; %bb.103:                              ;   in Loop: Header=BB95_25 Depth=2
	v_mbcnt_lo_u32_b32 v35, exec_lo, 0
	v_mbcnt_hi_u32_b32 v35, exec_hi, v35
	v_cmp_eq_u32_e32 vcc, 0, v35
	s_and_saveexec_b64 s[22:23], vcc
	s_xor_b64 s[22:23], exec, s[22:23]
	s_cbranch_execz .LBB95_105
; %bb.104:                              ;   in Loop: Header=BB95_25 Depth=2
	global_atomic_add_f32 v3, v1, s[20:21] offset:76
.LBB95_105:                             ;   in Loop: Header=BB95_25 Depth=2
	s_or_b64 exec, exec, s[22:23]
	s_mov_b64 s[22:23], exec
	v_bfrev_b32_e32 v1, 1
.LBB95_106:                             ;   Parent Loop BB95_3 Depth=1
                                        ;     Parent Loop BB95_25 Depth=2
                                        ; =>    This Inner Loop Header: Depth=3
	s_ff1_i32_b64 s15, s[22:23]
	s_lshl_b64 s[26:27], 1, s15
	v_readlane_b32 s25, v0, s15
	s_andn2_b64 s[22:23], s[22:23], s[26:27]
	s_cmp_lg_u64 s[22:23], 0
	v_add_f32_e32 v1, s25, v1
	s_cbranch_scc1 .LBB95_106
; %bb.107:                              ;   in Loop: Header=BB95_25 Depth=2
	;; [unrolled: 23-line block ×6, first 2 shown]
	v_mbcnt_lo_u32_b32 v35, exec_lo, 0
	v_mbcnt_hi_u32_b32 v35, exec_hi, v35
	v_cmp_eq_u32_e32 vcc, 0, v35
	s_and_saveexec_b64 s[22:23], vcc
	s_xor_b64 s[22:23], exec, s[22:23]
	s_cbranch_execz .LBB95_24
; %bb.124:                              ;   in Loop: Header=BB95_25 Depth=2
	global_atomic_add_f32 v3, v1, s[20:21] offset:96
	s_branch .LBB95_24
.LBB95_125:
	s_endpgm
	.section	.rodata,"a",@progbits
	.p2align	6, 0x0
	.amdhsa_kernel _Z19kPercentileClippingI6__halfLi2048ELi4EEvPT_Pfii
		.amdhsa_group_segment_fixed_size 4256
		.amdhsa_private_segment_fixed_size 0
		.amdhsa_kernarg_size 280
		.amdhsa_user_sgpr_count 2
		.amdhsa_user_sgpr_dispatch_ptr 0
		.amdhsa_user_sgpr_queue_ptr 0
		.amdhsa_user_sgpr_kernarg_segment_ptr 1
		.amdhsa_user_sgpr_dispatch_id 0
		.amdhsa_user_sgpr_kernarg_preload_length 0
		.amdhsa_user_sgpr_kernarg_preload_offset 0
		.amdhsa_user_sgpr_private_segment_size 0
		.amdhsa_uses_dynamic_stack 0
		.amdhsa_enable_private_segment 0
		.amdhsa_system_sgpr_workgroup_id_x 1
		.amdhsa_system_sgpr_workgroup_id_y 0
		.amdhsa_system_sgpr_workgroup_id_z 0
		.amdhsa_system_sgpr_workgroup_info 0
		.amdhsa_system_vgpr_workitem_id 0
		.amdhsa_next_free_vgpr 39
		.amdhsa_next_free_sgpr 28
		.amdhsa_accum_offset 40
		.amdhsa_reserve_vcc 1
		.amdhsa_float_round_mode_32 0
		.amdhsa_float_round_mode_16_64 0
		.amdhsa_float_denorm_mode_32 3
		.amdhsa_float_denorm_mode_16_64 3
		.amdhsa_dx10_clamp 1
		.amdhsa_ieee_mode 1
		.amdhsa_fp16_overflow 0
		.amdhsa_tg_split 0
		.amdhsa_exception_fp_ieee_invalid_op 0
		.amdhsa_exception_fp_denorm_src 0
		.amdhsa_exception_fp_ieee_div_zero 0
		.amdhsa_exception_fp_ieee_overflow 0
		.amdhsa_exception_fp_ieee_underflow 0
		.amdhsa_exception_fp_ieee_inexact 0
		.amdhsa_exception_int_div_zero 0
	.end_amdhsa_kernel
	.section	.text._Z19kPercentileClippingI6__halfLi2048ELi4EEvPT_Pfii,"axG",@progbits,_Z19kPercentileClippingI6__halfLi2048ELi4EEvPT_Pfii,comdat
.Lfunc_end95:
	.size	_Z19kPercentileClippingI6__halfLi2048ELi4EEvPT_Pfii, .Lfunc_end95-_Z19kPercentileClippingI6__halfLi2048ELi4EEvPT_Pfii
                                        ; -- End function
	.section	.AMDGPU.csdata,"",@progbits
; Kernel info:
; codeLenInByte = 3448
; NumSgprs: 34
; NumVgprs: 39
; NumAgprs: 0
; TotalNumVgprs: 39
; ScratchSize: 0
; MemoryBound: 0
; FloatMode: 240
; IeeeMode: 1
; LDSByteSize: 4256 bytes/workgroup (compile time only)
; SGPRBlocks: 4
; VGPRBlocks: 4
; NumSGPRsForWavesPerEU: 34
; NumVGPRsForWavesPerEU: 39
; AccumOffset: 40
; Occupancy: 8
; WaveLimiterHint : 0
; COMPUTE_PGM_RSRC2:SCRATCH_EN: 0
; COMPUTE_PGM_RSRC2:USER_SGPR: 2
; COMPUTE_PGM_RSRC2:TRAP_HANDLER: 0
; COMPUTE_PGM_RSRC2:TGID_X_EN: 1
; COMPUTE_PGM_RSRC2:TGID_Y_EN: 0
; COMPUTE_PGM_RSRC2:TGID_Z_EN: 0
; COMPUTE_PGM_RSRC2:TIDIG_COMP_CNT: 0
; COMPUTE_PGM_RSRC3_GFX90A:ACCUM_OFFSET: 9
; COMPUTE_PGM_RSRC3_GFX90A:TG_SPLIT: 0
	.section	.text._Z18kQuantizeBlockwiseI6__halfLi4096ELi4ELi0ELi0EEvPfPT_S1_PhS1_ii,"axG",@progbits,_Z18kQuantizeBlockwiseI6__halfLi4096ELi4ELi0ELi0EEvPfPT_S1_PhS1_ii,comdat
